;; amdgpu-corpus repo=ROCm/rocFFT kind=compiled arch=gfx1201 opt=O3
	.text
	.amdgcn_target "amdgcn-amd-amdhsa--gfx1201"
	.amdhsa_code_object_version 6
	.protected	fft_rtc_fwd_len240_factors_8_5_6_wgs_384_tpt_48_sp_ip_CI_sbcc ; -- Begin function fft_rtc_fwd_len240_factors_8_5_6_wgs_384_tpt_48_sp_ip_CI_sbcc
	.globl	fft_rtc_fwd_len240_factors_8_5_6_wgs_384_tpt_48_sp_ip_CI_sbcc
	.p2align	8
	.type	fft_rtc_fwd_len240_factors_8_5_6_wgs_384_tpt_48_sp_ip_CI_sbcc,@function
fft_rtc_fwd_len240_factors_8_5_6_wgs_384_tpt_48_sp_ip_CI_sbcc: ; @fft_rtc_fwd_len240_factors_8_5_6_wgs_384_tpt_48_sp_ip_CI_sbcc
; %bb.0:
	s_load_b128 s[8:11], s[0:1], 0x18
	s_mov_b32 s16, ttmp9
	s_mov_b32 s17, 0
	s_mov_b64 s[22:23], 0
	s_wait_kmcnt 0x0
	s_load_b64 s[12:13], s[8:9], 0x8
	s_wait_kmcnt 0x0
	s_add_nc_u64 s[2:3], s[12:13], -1
	s_delay_alu instid0(SALU_CYCLE_1) | instskip(NEXT) | instid1(SALU_CYCLE_1)
	s_lshr_b64 s[2:3], s[2:3], 3
	s_add_nc_u64 s[14:15], s[2:3], 1
	s_delay_alu instid0(SALU_CYCLE_1) | instskip(NEXT) | instid1(VALU_DEP_1)
	v_cmp_lt_u64_e64 s2, s[16:17], s[14:15]
	s_and_b32 vcc_lo, exec_lo, s2
	s_cbranch_vccnz .LBB0_2
; %bb.1:
	v_cvt_f32_u32_e32 v1, s14
	s_sub_co_i32 s3, 0, s14
	s_mov_b32 s23, s17
	s_delay_alu instid0(VALU_DEP_1) | instskip(NEXT) | instid1(TRANS32_DEP_1)
	v_rcp_iflag_f32_e32 v1, v1
	v_mul_f32_e32 v1, 0x4f7ffffe, v1
	s_delay_alu instid0(VALU_DEP_1) | instskip(NEXT) | instid1(VALU_DEP_1)
	v_cvt_u32_f32_e32 v1, v1
	v_readfirstlane_b32 s2, v1
	s_delay_alu instid0(VALU_DEP_1) | instskip(NEXT) | instid1(SALU_CYCLE_1)
	s_mul_i32 s3, s3, s2
	s_mul_hi_u32 s3, s2, s3
	s_delay_alu instid0(SALU_CYCLE_1) | instskip(NEXT) | instid1(SALU_CYCLE_1)
	s_add_co_i32 s2, s2, s3
	s_mul_hi_u32 s2, s16, s2
	s_delay_alu instid0(SALU_CYCLE_1) | instskip(SKIP_2) | instid1(SALU_CYCLE_1)
	s_mul_i32 s3, s2, s14
	s_add_co_i32 s4, s2, 1
	s_sub_co_i32 s3, s16, s3
	s_sub_co_i32 s5, s3, s14
	s_cmp_ge_u32 s3, s14
	s_cselect_b32 s2, s4, s2
	s_cselect_b32 s3, s5, s3
	s_add_co_i32 s4, s2, 1
	s_cmp_ge_u32 s3, s14
	s_cselect_b32 s22, s4, s2
.LBB0_2:
	s_load_b64 s[24:25], s[0:1], 0x10
	s_load_b128 s[4:7], s[10:11], 0x0
	s_load_b64 s[2:3], s[0:1], 0x0
	s_mul_u64 s[18:19], s[22:23], s[14:15]
	s_delay_alu instid0(SALU_CYCLE_1) | instskip(NEXT) | instid1(SALU_CYCLE_1)
	s_sub_nc_u64 s[18:19], s[16:17], s[18:19]
	s_lshl_b64 s[20:21], s[18:19], 3
	s_wait_kmcnt 0x0
	v_cmp_lt_u64_e64 s26, s[24:25], 3
	s_mul_u64 s[18:19], s[6:7], s[20:21]
	s_delay_alu instid0(VALU_DEP_1)
	s_and_b32 vcc_lo, exec_lo, s26
	s_cbranch_vccnz .LBB0_12
; %bb.3:
	s_add_nc_u64 s[26:27], s[10:11], 16
	s_add_nc_u64 s[8:9], s[8:9], 16
	s_mov_b64 s[28:29], 2
	s_mov_b32 s30, 0
.LBB0_4:                                ; =>This Inner Loop Header: Depth=1
	s_load_b64 s[34:35], s[8:9], 0x0
                                        ; implicit-def: $sgpr38_sgpr39
	s_wait_kmcnt 0x0
	s_or_b64 s[36:37], s[22:23], s[34:35]
	s_delay_alu instid0(SALU_CYCLE_1)
	s_mov_b32 s31, s37
	s_mov_b32 s37, -1
	s_wait_alu 0xfffe
	s_cmp_lg_u64 s[30:31], 0
	s_cbranch_scc0 .LBB0_6
; %bb.5:                                ;   in Loop: Header=BB0_4 Depth=1
	s_cvt_f32_u32 s31, s34
	s_cvt_f32_u32 s33, s35
	s_sub_nc_u64 s[40:41], 0, s[34:35]
	s_mov_b32 s37, 0
	s_mov_b32 s45, s30
	s_wait_alu 0xfffe
	s_fmamk_f32 s31, s33, 0x4f800000, s31
	s_wait_alu 0xfffe
	s_delay_alu instid0(SALU_CYCLE_2) | instskip(NEXT) | instid1(TRANS32_DEP_1)
	v_s_rcp_f32 s31, s31
	s_mul_f32 s31, s31, 0x5f7ffffc
	s_wait_alu 0xfffe
	s_delay_alu instid0(SALU_CYCLE_2) | instskip(NEXT) | instid1(SALU_CYCLE_3)
	s_mul_f32 s33, s31, 0x2f800000
	s_trunc_f32 s33, s33
	s_delay_alu instid0(SALU_CYCLE_3) | instskip(SKIP_2) | instid1(SALU_CYCLE_1)
	s_fmamk_f32 s31, s33, 0xcf800000, s31
	s_cvt_u32_f32 s39, s33
	s_wait_alu 0xfffe
	s_cvt_u32_f32 s38, s31
	s_wait_alu 0xfffe
	s_delay_alu instid0(SALU_CYCLE_2)
	s_mul_u64 s[42:43], s[40:41], s[38:39]
	s_wait_alu 0xfffe
	s_mul_hi_u32 s47, s38, s43
	s_mul_i32 s46, s38, s43
	s_mul_hi_u32 s36, s38, s42
	s_mul_i32 s33, s39, s42
	s_add_nc_u64 s[46:47], s[36:37], s[46:47]
	s_mul_hi_u32 s31, s39, s42
	s_mul_hi_u32 s48, s39, s43
	s_add_co_u32 s33, s46, s33
	s_wait_alu 0xfffe
	s_add_co_ci_u32 s44, s47, s31
	s_mul_i32 s42, s39, s43
	s_add_co_ci_u32 s43, s48, 0
	s_wait_alu 0xfffe
	s_add_nc_u64 s[42:43], s[44:45], s[42:43]
	s_wait_alu 0xfffe
	v_add_co_u32 v1, s31, s38, s42
	s_delay_alu instid0(VALU_DEP_1) | instskip(SKIP_1) | instid1(VALU_DEP_1)
	s_cmp_lg_u32 s31, 0
	s_add_co_ci_u32 s39, s39, s43
	v_readfirstlane_b32 s38, v1
	s_mov_b32 s43, s30
	s_wait_alu 0xfffe
	s_delay_alu instid0(VALU_DEP_1)
	s_mul_u64 s[40:41], s[40:41], s[38:39]
	s_wait_alu 0xfffe
	s_mul_hi_u32 s45, s38, s41
	s_mul_i32 s44, s38, s41
	s_mul_hi_u32 s36, s38, s40
	s_mul_i32 s33, s39, s40
	s_add_nc_u64 s[44:45], s[36:37], s[44:45]
	s_mul_hi_u32 s31, s39, s40
	s_mul_hi_u32 s38, s39, s41
	s_add_co_u32 s33, s44, s33
	s_wait_alu 0xfffe
	s_add_co_ci_u32 s42, s45, s31
	s_mul_i32 s40, s39, s41
	s_add_co_ci_u32 s41, s38, 0
	s_wait_alu 0xfffe
	s_add_nc_u64 s[40:41], s[42:43], s[40:41]
	s_wait_alu 0xfffe
	v_add_co_u32 v1, s31, v1, s40
	s_delay_alu instid0(VALU_DEP_1) | instskip(SKIP_1) | instid1(VALU_DEP_1)
	s_cmp_lg_u32 s31, 0
	s_add_co_ci_u32 s31, s39, s41
	v_readfirstlane_b32 s33, v1
	s_wait_alu 0xfffe
	s_mul_hi_u32 s39, s22, s31
	s_mul_i32 s38, s22, s31
	s_mul_hi_u32 s41, s23, s31
	s_mul_i32 s40, s23, s31
	;; [unrolled: 2-line block ×3, first 2 shown]
	s_wait_alu 0xfffe
	s_add_nc_u64 s[38:39], s[36:37], s[38:39]
	s_mul_hi_u32 s33, s23, s33
	s_wait_alu 0xfffe
	s_add_co_u32 s31, s38, s31
	s_add_co_ci_u32 s42, s39, s33
	s_add_co_ci_u32 s41, s41, 0
	s_wait_alu 0xfffe
	s_add_nc_u64 s[38:39], s[42:43], s[40:41]
	s_wait_alu 0xfffe
	s_mul_u64 s[40:41], s[34:35], s[38:39]
	s_add_nc_u64 s[42:43], s[38:39], 1
	s_wait_alu 0xfffe
	v_sub_co_u32 v1, s31, s22, s40
	s_sub_co_i32 s33, s23, s41
	s_cmp_lg_u32 s31, 0
	s_add_nc_u64 s[44:45], s[38:39], 2
	s_delay_alu instid0(VALU_DEP_1) | instskip(SKIP_2) | instid1(VALU_DEP_1)
	v_sub_co_u32 v2, s36, v1, s34
	s_sub_co_ci_u32 s33, s33, s35
	s_cmp_lg_u32 s36, 0
	v_readfirstlane_b32 s36, v2
	s_sub_co_ci_u32 s33, s33, 0
	s_delay_alu instid0(SALU_CYCLE_1) | instskip(SKIP_1) | instid1(VALU_DEP_1)
	s_cmp_ge_u32 s33, s35
	s_cselect_b32 s40, -1, 0
	s_cmp_ge_u32 s36, s34
	s_cselect_b32 s36, -1, 0
	s_cmp_eq_u32 s33, s35
	s_wait_alu 0xfffe
	s_cselect_b32 s33, s36, s40
	s_delay_alu instid0(SALU_CYCLE_1)
	s_cmp_lg_u32 s33, 0
	s_cselect_b32 s33, s44, s42
	s_cselect_b32 s36, s45, s43
	s_cmp_lg_u32 s31, 0
	v_readfirstlane_b32 s31, v1
	s_sub_co_ci_u32 s40, s23, s41
	s_wait_alu 0xfffe
	s_cmp_ge_u32 s40, s35
	s_cselect_b32 s41, -1, 0
	s_cmp_ge_u32 s31, s34
	s_cselect_b32 s31, -1, 0
	s_cmp_eq_u32 s40, s35
	s_wait_alu 0xfffe
	s_cselect_b32 s31, s31, s41
	s_wait_alu 0xfffe
	s_cmp_lg_u32 s31, 0
	s_cselect_b32 s39, s36, s39
	s_cselect_b32 s38, s33, s38
.LBB0_6:                                ;   in Loop: Header=BB0_4 Depth=1
	s_and_not1_b32 vcc_lo, exec_lo, s37
	s_cbranch_vccnz .LBB0_8
; %bb.7:                                ;   in Loop: Header=BB0_4 Depth=1
	v_cvt_f32_u32_e32 v1, s34
	s_sub_co_i32 s33, 0, s34
	s_mov_b32 s39, s30
	s_delay_alu instid0(VALU_DEP_1) | instskip(NEXT) | instid1(TRANS32_DEP_1)
	v_rcp_iflag_f32_e32 v1, v1
	v_mul_f32_e32 v1, 0x4f7ffffe, v1
	s_delay_alu instid0(VALU_DEP_1) | instskip(NEXT) | instid1(VALU_DEP_1)
	v_cvt_u32_f32_e32 v1, v1
	v_readfirstlane_b32 s31, v1
	s_delay_alu instid0(VALU_DEP_1) | instskip(NEXT) | instid1(SALU_CYCLE_1)
	s_mul_i32 s33, s33, s31
	s_mul_hi_u32 s33, s31, s33
	s_delay_alu instid0(SALU_CYCLE_1)
	s_add_co_i32 s31, s31, s33
	s_wait_alu 0xfffe
	s_mul_hi_u32 s31, s22, s31
	s_wait_alu 0xfffe
	s_mul_i32 s33, s31, s34
	s_add_co_i32 s36, s31, 1
	s_sub_co_i32 s33, s22, s33
	s_delay_alu instid0(SALU_CYCLE_1)
	s_sub_co_i32 s37, s33, s34
	s_cmp_ge_u32 s33, s34
	s_cselect_b32 s31, s36, s31
	s_cselect_b32 s33, s37, s33
	s_wait_alu 0xfffe
	s_add_co_i32 s36, s31, 1
	s_cmp_ge_u32 s33, s34
	s_cselect_b32 s38, s36, s31
.LBB0_8:                                ;   in Loop: Header=BB0_4 Depth=1
	s_load_b64 s[36:37], s[26:27], 0x0
	s_add_nc_u64 s[28:29], s[28:29], 1
	s_mul_u64 s[14:15], s[34:35], s[14:15]
	s_wait_alu 0xfffe
	v_cmp_ge_u64_e64 s31, s[28:29], s[24:25]
	s_mul_u64 s[34:35], s[38:39], s[34:35]
	s_add_nc_u64 s[26:27], s[26:27], 8
	s_wait_alu 0xfffe
	s_sub_nc_u64 s[22:23], s[22:23], s[34:35]
	s_add_nc_u64 s[8:9], s[8:9], 8
	s_and_b32 vcc_lo, exec_lo, s31
	s_wait_kmcnt 0x0
	s_wait_alu 0xfffe
	s_mul_u64 s[22:23], s[36:37], s[22:23]
	s_wait_alu 0xfffe
	s_add_nc_u64 s[18:19], s[22:23], s[18:19]
	s_cbranch_vccnz .LBB0_10
; %bb.9:                                ;   in Loop: Header=BB0_4 Depth=1
	s_mov_b64 s[22:23], s[38:39]
	s_branch .LBB0_4
.LBB0_10:
	v_cmp_lt_u64_e64 s8, s[16:17], s[14:15]
	s_mov_b64 s[22:23], 0
	s_delay_alu instid0(VALU_DEP_1)
	s_and_b32 vcc_lo, exec_lo, s8
	s_cbranch_vccnz .LBB0_12
; %bb.11:
	v_cvt_f32_u32_e32 v1, s14
	s_sub_co_i32 s9, 0, s14
	s_mov_b32 s23, 0
	s_delay_alu instid0(VALU_DEP_1) | instskip(NEXT) | instid1(TRANS32_DEP_1)
	v_rcp_iflag_f32_e32 v1, v1
	v_mul_f32_e32 v1, 0x4f7ffffe, v1
	s_delay_alu instid0(VALU_DEP_1) | instskip(NEXT) | instid1(VALU_DEP_1)
	v_cvt_u32_f32_e32 v1, v1
	v_readfirstlane_b32 s8, v1
	s_delay_alu instid0(VALU_DEP_1) | instskip(NEXT) | instid1(SALU_CYCLE_1)
	s_mul_i32 s9, s9, s8
	s_mul_hi_u32 s9, s8, s9
	s_delay_alu instid0(SALU_CYCLE_1) | instskip(NEXT) | instid1(SALU_CYCLE_1)
	s_add_co_i32 s8, s8, s9
	s_mul_hi_u32 s8, s16, s8
	s_delay_alu instid0(SALU_CYCLE_1) | instskip(SKIP_2) | instid1(SALU_CYCLE_1)
	s_mul_i32 s9, s8, s14
	s_add_co_i32 s15, s8, 1
	s_sub_co_i32 s9, s16, s9
	s_sub_co_i32 s16, s9, s14
	s_cmp_ge_u32 s9, s14
	s_wait_alu 0xfffe
	s_cselect_b32 s8, s15, s8
	s_cselect_b32 s9, s16, s9
	s_add_co_i32 s15, s8, 1
	s_cmp_ge_u32 s9, s14
	s_wait_alu 0xfffe
	s_cselect_b32 s22, s15, s8
.LBB0_12:
	s_lshl_b64 s[8:9], s[24:25], 3
	s_load_b64 s[0:1], s[0:1], 0x58
	s_add_nc_u64 s[8:9], s[10:11], s[8:9]
	v_dual_mov_b32 v2, s21 :: v_dual_and_b32 v17, 7, v0
	s_load_b64 s[8:9], s[8:9], 0x0
	s_add_nc_u64 s[10:11], s[20:21], 8
	v_lshrrev_b32_e32 v14, 3, v0
	s_delay_alu instid0(VALU_DEP_2) | instskip(SKIP_2) | instid1(VALU_DEP_4)
	v_or_b32_e32 v1, s20, v17
	v_cmp_le_u64_e64 s10, s[10:11], s[12:13]
	v_mul_u32_u24_e32 v18, 0x780, v17
	v_lshlrev_b32_e32 v19, 3, v14
	s_delay_alu instid0(VALU_DEP_4)
	v_cmp_gt_u64_e32 vcc_lo, s[12:13], v[1:2]
	v_add_nc_u32_e32 v15, 48, v14
	v_add_nc_u32_e32 v16, 0x60, v14
	;; [unrolled: 1-line block ×4, first 2 shown]
	s_or_b32 s10, s10, vcc_lo
	s_wait_kmcnt 0x0
	s_mul_u64 s[8:9], s[8:9], s[22:23]
	s_delay_alu instid0(SALU_CYCLE_1)
	s_add_nc_u64 s[8:9], s[8:9], s[18:19]
	s_wait_alu 0xfffe
	s_and_saveexec_b32 s11, s10
	s_cbranch_execz .LBB0_14
; %bb.13:
	v_mad_co_u64_u32 v[1:2], null, s6, v17, 0
	v_mad_co_u64_u32 v[3:4], null, s4, v14, 0
	;; [unrolled: 1-line block ×4, first 2 shown]
	s_lshl_b64 s[12:13], s[8:9], 3
	v_mad_co_u64_u32 v[20:21], null, s4, v12, 0
	s_delay_alu instid0(VALU_DEP_4) | instskip(SKIP_4) | instid1(VALU_DEP_3)
	v_mad_co_u64_u32 v[7:8], null, s7, v17, v[2:3]
	v_mad_co_u64_u32 v[8:9], null, s4, v16, 0
	;; [unrolled: 1-line block ×3, first 2 shown]
	s_wait_alu 0xfffe
	s_add_nc_u64 s[12:13], s[0:1], s[12:13]
	v_mov_b32_e32 v2, v7
	v_mad_co_u64_u32 v[6:7], null, s5, v15, v[6:7]
	s_delay_alu instid0(VALU_DEP_4) | instskip(NEXT) | instid1(VALU_DEP_3)
	v_mov_b32_e32 v4, v9
	v_lshlrev_b64_e32 v[1:2], 3, v[1:2]
	s_delay_alu instid0(VALU_DEP_2) | instskip(SKIP_2) | instid1(VALU_DEP_3)
	v_mad_co_u64_u32 v[23:24], null, s5, v16, v[4:5]
	v_mov_b32_e32 v4, v22
	s_wait_alu 0xfffe
	v_add_co_u32 v24, vcc_lo, s12, v1
	s_delay_alu instid0(VALU_DEP_4) | instskip(NEXT) | instid1(VALU_DEP_3)
	v_add_co_ci_u32_e32 v25, vcc_lo, s13, v2, vcc_lo
	v_lshlrev_b64_e32 v[2:3], 3, v[3:4]
	v_mov_b32_e32 v1, v11
	v_mov_b32_e32 v9, v23
	v_lshlrev_b64_e32 v[4:5], 3, v[5:6]
	s_delay_alu instid0(VALU_DEP_3)
	v_mad_co_u64_u32 v[22:23], null, s5, v13, v[1:2]
	v_mov_b32_e32 v1, v21
	v_add_co_u32 v2, vcc_lo, v24, v2
	s_wait_alu 0xfffd
	v_add_co_ci_u32_e32 v3, vcc_lo, v25, v3, vcc_lo
	v_add_co_u32 v4, vcc_lo, v24, v4
	s_delay_alu instid0(VALU_DEP_3) | instskip(SKIP_4) | instid1(VALU_DEP_3)
	v_mad_co_u64_u32 v[6:7], null, s5, v12, v[1:2]
	v_mov_b32_e32 v11, v22
	v_lshlrev_b64_e32 v[7:8], 3, v[8:9]
	s_wait_alu 0xfffd
	v_add_co_ci_u32_e32 v5, vcc_lo, v25, v5, vcc_lo
	v_lshlrev_b64_e32 v[9:10], 3, v[10:11]
	v_mov_b32_e32 v21, v6
	s_delay_alu instid0(VALU_DEP_4) | instskip(SKIP_2) | instid1(VALU_DEP_3)
	v_add_co_u32 v6, vcc_lo, v24, v7
	s_wait_alu 0xfffd
	v_add_co_ci_u32_e32 v7, vcc_lo, v25, v8, vcc_lo
	v_lshlrev_b64_e32 v[20:21], 3, v[20:21]
	v_add_co_u32 v8, vcc_lo, v24, v9
	s_wait_alu 0xfffd
	v_add_co_ci_u32_e32 v9, vcc_lo, v25, v10, vcc_lo
	s_delay_alu instid0(VALU_DEP_3)
	v_add_co_u32 v10, vcc_lo, v24, v20
	s_wait_alu 0xfffd
	v_add_co_ci_u32_e32 v11, vcc_lo, v25, v21, vcc_lo
	s_clause 0x4
	global_load_b64 v[1:2], v[2:3], off
	global_load_b64 v[3:4], v[4:5], off
	global_load_b64 v[5:6], v[6:7], off
	global_load_b64 v[7:8], v[8:9], off
	global_load_b64 v[9:10], v[10:11], off
	v_add3_u32 v11, 0, v18, v19
	s_wait_loadcnt 0x3
	ds_store_2addr_b64 v11, v[1:2], v[3:4] offset1:48
	s_wait_loadcnt 0x1
	ds_store_2addr_b64 v11, v[5:6], v[7:8] offset0:96 offset1:144
	s_wait_loadcnt 0x0
	ds_store_b64 v11, v[9:10] offset:1536
.LBB0_14:
	s_wait_alu 0xfffe
	s_or_b32 exec_lo, exec_lo, s11
	v_and_b32_e32 v1, 0xffff, v0
	global_wb scope:SCOPE_SE
	s_wait_dscnt 0x0
	s_barrier_signal -1
	s_barrier_wait -1
	global_inv scope:SCOPE_SE
	v_mul_u32_u24_e32 v1, 0xaaab, v1
	s_mov_b32 s11, exec_lo
	s_delay_alu instid0(VALU_DEP_1) | instskip(NEXT) | instid1(VALU_DEP_1)
	v_lshrrev_b32_e32 v1, 21, v1
	v_mul_lo_u16 v2, v1, 48
	v_and_b32_e32 v1, 7, v1
	s_delay_alu instid0(VALU_DEP_2) | instskip(NEXT) | instid1(VALU_DEP_2)
	v_sub_nc_u16 v37, v0, v2
	v_mul_lo_u16 v0, 0xf0, v1
	s_delay_alu instid0(VALU_DEP_2) | instskip(NEXT) | instid1(VALU_DEP_2)
	v_and_b32_e32 v22, 0xffff, v37
	v_and_b32_e32 v0, 0xffff, v0
	s_delay_alu instid0(VALU_DEP_2) | instskip(NEXT) | instid1(VALU_DEP_2)
	v_lshlrev_b32_e32 v1, 3, v22
	v_lshlrev_b32_e32 v23, 3, v0
	s_delay_alu instid0(VALU_DEP_2) | instskip(NEXT) | instid1(VALU_DEP_2)
	v_add_nc_u32_e32 v24, 0, v1
	v_add3_u32 v21, 0, v23, v1
	s_delay_alu instid0(VALU_DEP_2)
	v_add_nc_u32_e32 v20, v24, v23
	ds_load_2addr_b64 v[0:3], v20 offset0:90 offset1:120
	ds_load_b64 v[10:11], v21
	ds_load_2addr_b64 v[4:7], v20 offset0:30 offset1:60
	ds_load_2addr_b64 v[28:31], v20 offset0:150 offset1:180
	ds_load_b64 v[8:9], v20 offset:1680
	global_wb scope:SCOPE_SE
	s_wait_dscnt 0x0
	s_barrier_signal -1
	s_barrier_wait -1
	global_inv scope:SCOPE_SE
	v_dual_sub_f32 v27, v10, v2 :: v_dual_sub_f32 v32, v11, v3
	v_sub_f32_e32 v26, v6, v30
	v_dual_sub_f32 v34, v7, v31 :: v_dual_sub_f32 v33, v4, v28
	v_dual_sub_f32 v30, v1, v9 :: v_dual_sub_f32 v35, v0, v8
	s_delay_alu instid0(VALU_DEP_2) | instskip(NEXT) | instid1(VALU_DEP_1)
	v_dual_sub_f32 v28, v5, v29 :: v_dual_sub_f32 v3, v27, v34
	v_dual_sub_f32 v36, v33, v30 :: v_dual_add_f32 v31, v28, v35
	s_delay_alu instid0(VALU_DEP_2) | instskip(NEXT) | instid1(VALU_DEP_2)
	v_fma_f32 v2, v27, 2.0, -v3
	v_fma_f32 v38, v33, 2.0, -v36
	v_add_f32_e32 v29, v32, v26
	s_delay_alu instid0(VALU_DEP_4) | instskip(NEXT) | instid1(VALU_DEP_3)
	v_fma_f32 v39, v28, 2.0, -v31
	v_fmamk_f32 v8, v38, 0xbf3504f3, v2
	s_delay_alu instid0(VALU_DEP_3) | instskip(NEXT) | instid1(VALU_DEP_1)
	v_fma_f32 v25, v32, 2.0, -v29
	v_dual_fmac_f32 v8, 0xbf3504f3, v39 :: v_dual_fmamk_f32 v9, v39, 0xbf3504f3, v25
	s_delay_alu instid0(VALU_DEP_1)
	v_fmac_f32_e32 v9, 0x3f3504f3, v38
	v_cmpx_gt_u16_e32 30, v37
	s_cbranch_execz .LBB0_16
; %bb.15:
	v_fma_f32 v10, v10, 2.0, -v27
	v_fma_f32 v6, v6, 2.0, -v26
	v_fmamk_f32 v38, v31, 0x3f3504f3, v29
	v_fmamk_f32 v37, v36, 0x3f3504f3, v3
	v_fma_f32 v11, v11, 2.0, -v32
	v_fma_f32 v7, v7, 2.0, -v34
	;; [unrolled: 1-line block ×3, first 2 shown]
	v_fmac_f32_e32 v38, 0x3f3504f3, v36
	v_fma_f32 v0, v0, 2.0, -v35
	v_fma_f32 v5, v5, 2.0, -v28
	;; [unrolled: 1-line block ×3, first 2 shown]
	v_sub_f32_e32 v7, v11, v7
	v_fma_f32 v1, v29, 2.0, -v38
	v_dual_sub_f32 v0, v32, v0 :: v_dual_sub_f32 v29, v10, v6
	s_delay_alu instid0(VALU_DEP_4) | instskip(NEXT) | instid1(VALU_DEP_4)
	v_dual_sub_f32 v26, v5, v4 :: v_dual_fmac_f32 v37, 0xbf3504f3, v31
	v_fma_f32 v27, v11, 2.0, -v7
	s_delay_alu instid0(VALU_DEP_3) | instskip(NEXT) | instid1(VALU_DEP_4)
	v_add_f32_e32 v4, v7, v0
	v_fma_f32 v30, v10, 2.0, -v29
	s_delay_alu instid0(VALU_DEP_4) | instskip(SKIP_4) | instid1(VALU_DEP_4)
	v_fma_f32 v5, v5, 2.0, -v26
	v_fma_f32 v10, v32, 2.0, -v0
	;; [unrolled: 1-line block ×3, first 2 shown]
	v_sub_f32_e32 v3, v29, v26
	v_fma_f32 v26, v25, 2.0, -v9
	v_dual_sub_f32 v11, v27, v5 :: v_dual_sub_f32 v10, v30, v10
	v_mul_u32_u24_e32 v5, 56, v22
	v_fma_f32 v25, v2, 2.0, -v8
	v_fma_f32 v6, v7, 2.0, -v4
	s_delay_alu instid0(VALU_DEP_4)
	v_fma_f32 v28, v27, 2.0, -v11
	v_fma_f32 v27, v30, 2.0, -v10
	v_add3_u32 v2, v24, v5, v23
	v_fma_f32 v5, v29, 2.0, -v3
	ds_store_2addr_b64 v2, v[27:28], v[25:26] offset1:1
	ds_store_2addr_b64 v2, v[5:6], v[0:1] offset0:2 offset1:3
	ds_store_2addr_b64 v2, v[10:11], v[8:9] offset0:4 offset1:5
	;; [unrolled: 1-line block ×3, first 2 shown]
.LBB0_16:
	s_wait_alu 0xfffe
	s_or_b32 exec_lo, exec_lo, s11
	v_and_b32_e32 v0, 7, v22
	global_wb scope:SCOPE_SE
	s_wait_dscnt 0x0
	s_barrier_signal -1
	s_barrier_wait -1
	global_inv scope:SCOPE_SE
	v_lshlrev_b32_e32 v1, 5, v0
	v_cmp_gt_u16_e32 vcc_lo, 40, v22
	s_clause 0x1
	global_load_b128 v[2:5], v1, s[2:3]
	global_load_b128 v[24:27], v1, s[2:3] offset:16
	v_lshrrev_b32_e32 v1, 3, v22
	ds_load_2addr_b64 v[28:31], v20 offset0:48 offset1:96
	ds_load_2addr_b64 v[32:35], v20 offset0:144 offset1:192
	v_mul_u32_u24_e32 v1, 40, v1
	s_delay_alu instid0(VALU_DEP_1) | instskip(NEXT) | instid1(VALU_DEP_1)
	v_or_b32_e32 v0, v1, v0
	v_lshlrev_b32_e32 v6, 3, v0
	ds_load_2addr_b32 v[0:1], v21 offset1:1
	global_wb scope:SCOPE_SE
	s_wait_loadcnt_dscnt 0x0
	s_barrier_signal -1
	s_barrier_wait -1
	global_inv scope:SCOPE_SE
	v_mul_f32_e32 v7, v5, v31
	v_add3_u32 v23, 0, v6, v23
	v_mul_f32_e32 v6, v3, v29
	v_dual_mul_f32 v3, v3, v28 :: v_dual_mul_f32 v10, v25, v33
	s_delay_alu instid0(VALU_DEP_2) | instskip(NEXT) | instid1(VALU_DEP_2)
	v_fma_f32 v6, v2, v28, -v6
	v_fmac_f32_e32 v3, v2, v29
	v_fma_f32 v2, v4, v30, -v7
	v_mul_f32_e32 v5, v5, v30
	v_mul_f32_e32 v11, v25, v32
	s_delay_alu instid0(VALU_DEP_3) | instskip(NEXT) | instid1(VALU_DEP_3)
	v_dual_mul_f32 v25, v27, v35 :: v_dual_sub_f32 v28, v6, v2
	v_fmac_f32_e32 v5, v4, v31
	v_fma_f32 v4, v24, v32, -v10
	s_delay_alu instid0(VALU_DEP_3) | instskip(NEXT) | instid1(VALU_DEP_2)
	v_fma_f32 v10, v26, v34, -v25
	v_dual_fmac_f32 v11, v24, v33 :: v_dual_sub_f32 v36, v2, v4
	s_delay_alu instid0(VALU_DEP_2) | instskip(SKIP_1) | instid1(VALU_DEP_3)
	v_add_f32_e32 v30, v6, v10
	v_mul_f32_e32 v27, v27, v34
	v_dual_add_f32 v7, v6, v0 :: v_dual_add_f32 v34, v5, v11
	v_add_f32_e32 v24, v2, v4
	s_delay_alu instid0(VALU_DEP_3) | instskip(SKIP_1) | instid1(VALU_DEP_4)
	v_dual_sub_f32 v32, v4, v10 :: v_dual_fmac_f32 v27, v26, v35
	v_dual_sub_f32 v26, v5, v11 :: v_dual_sub_f32 v31, v2, v6
	v_add_f32_e32 v7, v7, v2
	s_delay_alu instid0(VALU_DEP_4)
	v_fma_f32 v2, -0.5, v24, v0
	v_sub_f32_e32 v39, v5, v3
	v_dual_sub_f32 v35, v6, v10 :: v_dual_sub_f32 v6, v3, v5
	v_dual_sub_f32 v29, v10, v4 :: v_dual_add_f32 v38, v3, v27
	v_sub_f32_e32 v25, v3, v27
	v_sub_f32_e32 v40, v11, v27
	s_delay_alu instid0(VALU_DEP_3)
	v_dual_add_f32 v33, v1, v3 :: v_dual_add_f32 v24, v28, v29
	v_add_f32_e32 v28, v31, v32
	v_sub_f32_e32 v37, v27, v11
	v_fma_f32 v0, -0.5, v30, v0
	v_dual_add_f32 v31, v7, v4 :: v_dual_fmamk_f32 v4, v25, 0x3f737871, v2
	v_add_f32_e32 v5, v33, v5
	v_fma_f32 v3, -0.5, v34, v1
	v_fmac_f32_e32 v2, 0xbf737871, v25
	v_add_f32_e32 v30, v39, v40
	v_dual_fmac_f32 v4, 0x3f167918, v26 :: v_dual_add_f32 v29, v6, v37
	v_add_f32_e32 v10, v31, v10
	v_dual_fmamk_f32 v6, v26, 0xbf737871, v0 :: v_dual_fmac_f32 v1, -0.5, v38
	v_dual_fmac_f32 v0, 0x3f737871, v26 :: v_dual_add_f32 v11, v5, v11
	v_fmac_f32_e32 v2, 0xbf167918, v26
	v_fmamk_f32 v5, v35, 0xbf737871, v3
	v_fmac_f32_e32 v3, 0x3f737871, v35
	v_fmac_f32_e32 v6, 0x3f167918, v25
	v_fmamk_f32 v7, v36, 0x3f737871, v1
	v_fmac_f32_e32 v1, 0xbf737871, v36
	v_dual_fmac_f32 v0, 0xbf167918, v25 :: v_dual_add_f32 v11, v11, v27
	v_fmac_f32_e32 v5, 0xbf167918, v36
	v_fmac_f32_e32 v3, 0x3f167918, v36
	;; [unrolled: 1-line block ×4, first 2 shown]
	s_delay_alu instid0(VALU_DEP_4) | instskip(NEXT) | instid1(VALU_DEP_3)
	v_dual_fmac_f32 v4, 0x3e9e377a, v24 :: v_dual_fmac_f32 v5, 0x3e9e377a, v29
	v_dual_fmac_f32 v2, 0x3e9e377a, v24 :: v_dual_fmac_f32 v7, 0x3e9e377a, v30
	s_delay_alu instid0(VALU_DEP_3)
	v_dual_fmac_f32 v6, 0x3e9e377a, v28 :: v_dual_fmac_f32 v1, 0x3e9e377a, v30
	v_dual_fmac_f32 v0, 0x3e9e377a, v28 :: v_dual_fmac_f32 v3, 0x3e9e377a, v29
	ds_store_2addr_b64 v23, v[10:11], v[4:5] offset1:8
	ds_store_2addr_b64 v23, v[6:7], v[0:1] offset0:16 offset1:24
	ds_store_b64 v23, v[2:3] offset:256
	global_wb scope:SCOPE_SE
	s_wait_dscnt 0x0
	s_barrier_signal -1
	s_barrier_wait -1
	global_inv scope:SCOPE_SE
	s_and_saveexec_b32 s11, vcc_lo
	s_cbranch_execz .LBB0_18
; %bb.17:
	ds_load_2addr_b64 v[4:7], v20 offset0:40 offset1:80
	ds_load_2addr_b64 v[0:3], v20 offset0:120 offset1:160
	ds_load_b64 v[10:11], v21
	ds_load_b64 v[8:9], v20 offset:1600
.LBB0_18:
	s_wait_alu 0xfffe
	s_or_b32 exec_lo, exec_lo, s11
	global_wb scope:SCOPE_SE
	s_wait_dscnt 0x0
	s_barrier_signal -1
	s_barrier_wait -1
	global_inv scope:SCOPE_SE
	s_and_saveexec_b32 s11, vcc_lo
	s_cbranch_execz .LBB0_20
; %bb.19:
	v_subrev_nc_u32_e32 v23, 40, v22
	s_delay_alu instid0(VALU_DEP_1) | instskip(NEXT) | instid1(VALU_DEP_1)
	v_dual_cndmask_b32 v22, v23, v22 :: v_dual_mov_b32 v23, 0
	v_mul_i32_i24_e32 v22, 5, v22
	s_delay_alu instid0(VALU_DEP_1) | instskip(NEXT) | instid1(VALU_DEP_1)
	v_lshlrev_b64_e32 v[22:23], 3, v[22:23]
	v_add_co_u32 v30, vcc_lo, s2, v22
	s_wait_alu 0xfffd
	s_delay_alu instid0(VALU_DEP_2)
	v_add_co_ci_u32_e32 v31, vcc_lo, s3, v23, vcc_lo
	s_clause 0x2
	global_load_b128 v[22:25], v[30:31], off offset:256
	global_load_b128 v[26:29], v[30:31], off offset:272
	global_load_b64 v[30:31], v[30:31], off offset:288
	s_wait_loadcnt 0x1
	v_dual_mul_f32 v32, v7, v25 :: v_dual_mul_f32 v35, v1, v27
	s_wait_loadcnt 0x0
	v_dual_mul_f32 v25, v6, v25 :: v_dual_mul_f32 v36, v9, v31
	v_dual_mul_f32 v33, v3, v29 :: v_dual_mul_f32 v34, v5, v23
	s_delay_alu instid0(VALU_DEP_3) | instskip(SKIP_1) | instid1(VALU_DEP_1)
	v_fma_f32 v6, v6, v24, -v32
	v_mul_f32_e32 v31, v8, v31
	v_fmac_f32_e32 v31, v9, v30
	v_fmac_f32_e32 v25, v7, v24
	v_mul_f32_e32 v27, v0, v27
	v_fma_f32 v0, v0, v26, -v35
	s_delay_alu instid0(VALU_DEP_2) | instskip(SKIP_2) | instid1(VALU_DEP_2)
	v_dual_add_f32 v24, v11, v25 :: v_dual_fmac_f32 v27, v1, v26
	v_mul_f32_e32 v29, v2, v29
	v_fma_f32 v2, v2, v28, -v33
	v_fmac_f32_e32 v29, v3, v28
	v_fma_f32 v3, v4, v22, -v34
	v_mul_f32_e32 v23, v4, v23
	v_fma_f32 v4, v8, v30, -v36
	s_delay_alu instid0(VALU_DEP_1) | instskip(SKIP_2) | instid1(VALU_DEP_1)
	v_add_f32_e32 v7, v0, v4
	v_sub_f32_e32 v9, v0, v4
	v_add_f32_e32 v0, v3, v0
	v_dual_add_f32 v4, v0, v4 :: v_dual_fmac_f32 v23, v5, v22
	s_delay_alu instid0(VALU_DEP_1) | instskip(SKIP_4) | instid1(VALU_DEP_2)
	v_add_f32_e32 v26, v23, v27
	v_add_f32_e32 v22, v27, v31
	v_dual_sub_f32 v8, v27, v31 :: v_dual_sub_f32 v1, v6, v2
	v_add_f32_e32 v27, v6, v2
	v_add_f32_e32 v6, v10, v6
	v_fma_f32 v10, -0.5, v27, v10
	s_delay_alu instid0(VALU_DEP_2) | instskip(NEXT) | instid1(VALU_DEP_1)
	v_dual_add_f32 v2, v6, v2 :: v_dual_add_f32 v5, v25, v29
	v_sub_f32_e32 v0, v2, v4
	s_delay_alu instid0(VALU_DEP_2) | instskip(SKIP_4) | instid1(VALU_DEP_4)
	v_fma_f32 v11, -0.5, v5, v11
	v_fma_f32 v5, -0.5, v7, v3
	;; [unrolled: 1-line block ×3, first 2 shown]
	v_add_f32_e32 v22, v26, v31
	v_add_f32_e32 v2, v2, v4
	v_fmamk_f32 v6, v8, 0xbf5db3d7, v5
	v_fmac_f32_e32 v5, 0x3f5db3d7, v8
	v_sub_f32_e32 v25, v25, v29
	v_fmamk_f32 v23, v1, 0x3f5db3d7, v11
	v_fmac_f32_e32 v11, 0xbf5db3d7, v1
	s_delay_alu instid0(VALU_DEP_4) | instskip(SKIP_1) | instid1(VALU_DEP_1)
	v_mul_f32_e32 v8, 0xbf5db3d7, v5
	v_add_f32_e32 v3, v24, v29
	v_sub_f32_e32 v1, v3, v22
	v_add_f32_e32 v3, v3, v22
	v_mul_f32_e32 v22, -0.5, v6
	v_fmamk_f32 v26, v25, 0xbf5db3d7, v10
	v_fmac_f32_e32 v10, 0x3f5db3d7, v25
	v_fmamk_f32 v24, v9, 0x3f5db3d7, v7
	v_fmac_f32_e32 v7, 0xbf5db3d7, v9
	s_delay_alu instid0(VALU_DEP_2) | instskip(NEXT) | instid1(VALU_DEP_2)
	v_mul_f32_e32 v25, -0.5, v24
	v_dual_fmac_f32 v22, 0x3f5db3d7, v24 :: v_dual_mul_f32 v27, 0x3f5db3d7, v7
	s_delay_alu instid0(VALU_DEP_2) | instskip(NEXT) | instid1(VALU_DEP_2)
	v_dual_fmac_f32 v8, 0.5, v7 :: v_dual_fmac_f32 v25, 0xbf5db3d7, v6
	v_dual_add_f32 v6, v26, v22 :: v_dual_fmac_f32 v27, 0.5, v5
	s_delay_alu instid0(VALU_DEP_2) | instskip(SKIP_1) | instid1(VALU_DEP_4)
	v_sub_f32_e32 v5, v11, v8
	v_add_f32_e32 v9, v11, v8
	v_add_f32_e32 v7, v23, v25
	s_delay_alu instid0(VALU_DEP_4)
	v_dual_sub_f32 v11, v23, v25 :: v_dual_add_f32 v8, v10, v27
	v_sub_f32_e32 v4, v10, v27
	v_sub_f32_e32 v10, v26, v22
	ds_store_2addr_b64 v20, v[8:9], v[6:7] offset0:40 offset1:80
	ds_store_2addr_b64 v20, v[0:1], v[4:5] offset0:120 offset1:160
	ds_store_b64 v21, v[2:3]
	ds_store_b64 v20, v[10:11] offset:1600
.LBB0_20:
	s_wait_alu 0xfffe
	s_or_b32 exec_lo, exec_lo, s11
	global_wb scope:SCOPE_SE
	s_wait_dscnt 0x0
	s_barrier_signal -1
	s_barrier_wait -1
	global_inv scope:SCOPE_SE
	s_and_saveexec_b32 s2, s10
	s_cbranch_execz .LBB0_22
; %bb.21:
	v_mad_co_u64_u32 v[4:5], null, s6, v17, 0
	v_mad_co_u64_u32 v[6:7], null, s4, v14, 0
	;; [unrolled: 1-line block ×3, first 2 shown]
	v_add3_u32 v22, 0, v18, v19
	v_mad_co_u64_u32 v[10:11], null, s4, v16, 0
	v_mov_b32_e32 v0, v5
	s_lshl_b64 s[2:3], s[8:9], 3
	s_wait_alu 0xfffe
	s_add_nc_u64 s[0:1], s[0:1], s[2:3]
	s_delay_alu instid0(VALU_DEP_1) | instskip(SKIP_4) | instid1(VALU_DEP_4)
	v_mad_co_u64_u32 v[0:1], null, s7, v17, v[0:1]
	v_mov_b32_e32 v1, v7
	v_mad_co_u64_u32 v[17:18], null, s4, v13, 0
	v_mov_b32_e32 v7, v9
	v_mov_b32_e32 v9, v11
	v_mad_co_u64_u32 v[19:20], null, s5, v14, v[1:2]
	s_delay_alu instid0(VALU_DEP_3) | instskip(NEXT) | instid1(VALU_DEP_3)
	v_mad_co_u64_u32 v[14:15], null, s5, v15, v[7:8]
	v_mad_co_u64_u32 v[15:16], null, s5, v16, v[9:10]
	s_delay_alu instid0(VALU_DEP_3)
	v_mov_b32_e32 v7, v19
	v_mad_co_u64_u32 v[19:20], null, s4, v12, 0
	v_mov_b32_e32 v5, v0
	v_mov_b32_e32 v9, v14
	ds_load_2addr_b64 v[0:3], v22 offset1:48
	v_dual_mov_b32 v11, v15 :: v_dual_mov_b32 v16, v20
	v_lshlrev_b64_e32 v[4:5], 3, v[4:5]
	v_lshlrev_b64_e32 v[8:9], 3, v[8:9]
	s_delay_alu instid0(VALU_DEP_3) | instskip(NEXT) | instid1(VALU_DEP_4)
	v_lshlrev_b64_e32 v[10:11], 3, v[10:11]
	v_mad_co_u64_u32 v[20:21], null, s5, v12, v[16:17]
	s_delay_alu instid0(VALU_DEP_4) | instskip(SKIP_4) | instid1(VALU_DEP_1)
	v_add_co_u32 v23, vcc_lo, s0, v4
	s_wait_alu 0xfffd
	v_add_co_ci_u32_e32 v24, vcc_lo, s1, v5, vcc_lo
	v_lshlrev_b64_e32 v[4:5], 3, v[6:7]
	v_mov_b32_e32 v6, v18
	v_mad_co_u64_u32 v[13:14], null, s5, v13, v[6:7]
	s_delay_alu instid0(VALU_DEP_3) | instskip(SKIP_1) | instid1(VALU_DEP_4)
	v_add_co_u32 v14, vcc_lo, v23, v4
	s_wait_alu 0xfffd
	v_add_co_ci_u32_e32 v15, vcc_lo, v24, v5, vcc_lo
	ds_load_2addr_b64 v[4:7], v22 offset0:96 offset1:144
	v_add_co_u32 v8, vcc_lo, v23, v8
	v_mov_b32_e32 v18, v13
	ds_load_b64 v[12:13], v22 offset:1536
	s_wait_alu 0xfffd
	v_add_co_ci_u32_e32 v9, vcc_lo, v24, v9, vcc_lo
	v_add_co_u32 v10, vcc_lo, v23, v10
	v_lshlrev_b64_e32 v[16:17], 3, v[17:18]
	v_lshlrev_b64_e32 v[18:19], 3, v[19:20]
	s_wait_alu 0xfffd
	v_add_co_ci_u32_e32 v11, vcc_lo, v24, v11, vcc_lo
	s_delay_alu instid0(VALU_DEP_3)
	v_add_co_u32 v16, vcc_lo, v23, v16
	s_wait_alu 0xfffd
	v_add_co_ci_u32_e32 v17, vcc_lo, v24, v17, vcc_lo
	v_add_co_u32 v18, vcc_lo, v23, v18
	s_wait_alu 0xfffd
	v_add_co_ci_u32_e32 v19, vcc_lo, v24, v19, vcc_lo
	s_wait_dscnt 0x2
	s_clause 0x1
	global_store_b64 v[14:15], v[0:1], off
	global_store_b64 v[8:9], v[2:3], off
	s_wait_dscnt 0x1
	s_clause 0x1
	global_store_b64 v[10:11], v[4:5], off
	global_store_b64 v[16:17], v[6:7], off
	s_wait_dscnt 0x0
	global_store_b64 v[18:19], v[12:13], off
.LBB0_22:
	s_nop 0
	s_sendmsg sendmsg(MSG_DEALLOC_VGPRS)
	s_endpgm
	.section	.rodata,"a",@progbits
	.p2align	6, 0x0
	.amdhsa_kernel fft_rtc_fwd_len240_factors_8_5_6_wgs_384_tpt_48_sp_ip_CI_sbcc
		.amdhsa_group_segment_fixed_size 0
		.amdhsa_private_segment_fixed_size 0
		.amdhsa_kernarg_size 96
		.amdhsa_user_sgpr_count 2
		.amdhsa_user_sgpr_dispatch_ptr 0
		.amdhsa_user_sgpr_queue_ptr 0
		.amdhsa_user_sgpr_kernarg_segment_ptr 1
		.amdhsa_user_sgpr_dispatch_id 0
		.amdhsa_user_sgpr_private_segment_size 0
		.amdhsa_wavefront_size32 1
		.amdhsa_uses_dynamic_stack 0
		.amdhsa_enable_private_segment 0
		.amdhsa_system_sgpr_workgroup_id_x 1
		.amdhsa_system_sgpr_workgroup_id_y 0
		.amdhsa_system_sgpr_workgroup_id_z 0
		.amdhsa_system_sgpr_workgroup_info 0
		.amdhsa_system_vgpr_workitem_id 0
		.amdhsa_next_free_vgpr 41
		.amdhsa_next_free_sgpr 49
		.amdhsa_reserve_vcc 1
		.amdhsa_float_round_mode_32 0
		.amdhsa_float_round_mode_16_64 0
		.amdhsa_float_denorm_mode_32 3
		.amdhsa_float_denorm_mode_16_64 3
		.amdhsa_fp16_overflow 0
		.amdhsa_workgroup_processor_mode 1
		.amdhsa_memory_ordered 1
		.amdhsa_forward_progress 0
		.amdhsa_round_robin_scheduling 0
		.amdhsa_exception_fp_ieee_invalid_op 0
		.amdhsa_exception_fp_denorm_src 0
		.amdhsa_exception_fp_ieee_div_zero 0
		.amdhsa_exception_fp_ieee_overflow 0
		.amdhsa_exception_fp_ieee_underflow 0
		.amdhsa_exception_fp_ieee_inexact 0
		.amdhsa_exception_int_div_zero 0
	.end_amdhsa_kernel
	.text
.Lfunc_end0:
	.size	fft_rtc_fwd_len240_factors_8_5_6_wgs_384_tpt_48_sp_ip_CI_sbcc, .Lfunc_end0-fft_rtc_fwd_len240_factors_8_5_6_wgs_384_tpt_48_sp_ip_CI_sbcc
                                        ; -- End function
	.section	.AMDGPU.csdata,"",@progbits
; Kernel info:
; codeLenInByte = 4148
; NumSgprs: 51
; NumVgprs: 41
; ScratchSize: 0
; MemoryBound: 0
; FloatMode: 240
; IeeeMode: 1
; LDSByteSize: 0 bytes/workgroup (compile time only)
; SGPRBlocks: 6
; VGPRBlocks: 5
; NumSGPRsForWavesPerEU: 51
; NumVGPRsForWavesPerEU: 41
; Occupancy: 15
; WaveLimiterHint : 1
; COMPUTE_PGM_RSRC2:SCRATCH_EN: 0
; COMPUTE_PGM_RSRC2:USER_SGPR: 2
; COMPUTE_PGM_RSRC2:TRAP_HANDLER: 0
; COMPUTE_PGM_RSRC2:TGID_X_EN: 1
; COMPUTE_PGM_RSRC2:TGID_Y_EN: 0
; COMPUTE_PGM_RSRC2:TGID_Z_EN: 0
; COMPUTE_PGM_RSRC2:TIDIG_COMP_CNT: 0
	.text
	.p2alignl 7, 3214868480
	.fill 96, 4, 3214868480
	.type	__hip_cuid_a38c80d032eb3410,@object ; @__hip_cuid_a38c80d032eb3410
	.section	.bss,"aw",@nobits
	.globl	__hip_cuid_a38c80d032eb3410
__hip_cuid_a38c80d032eb3410:
	.byte	0                               ; 0x0
	.size	__hip_cuid_a38c80d032eb3410, 1

	.ident	"AMD clang version 19.0.0git (https://github.com/RadeonOpenCompute/llvm-project roc-6.4.0 25133 c7fe45cf4b819c5991fe208aaa96edf142730f1d)"
	.section	".note.GNU-stack","",@progbits
	.addrsig
	.addrsig_sym __hip_cuid_a38c80d032eb3410
	.amdgpu_metadata
---
amdhsa.kernels:
  - .args:
      - .actual_access:  read_only
        .address_space:  global
        .offset:         0
        .size:           8
        .value_kind:     global_buffer
      - .address_space:  global
        .offset:         8
        .size:           8
        .value_kind:     global_buffer
      - .offset:         16
        .size:           8
        .value_kind:     by_value
      - .actual_access:  read_only
        .address_space:  global
        .offset:         24
        .size:           8
        .value_kind:     global_buffer
      - .actual_access:  read_only
        .address_space:  global
        .offset:         32
        .size:           8
        .value_kind:     global_buffer
      - .offset:         40
        .size:           8
        .value_kind:     by_value
      - .actual_access:  read_only
        .address_space:  global
        .offset:         48
        .size:           8
        .value_kind:     global_buffer
      - .actual_access:  read_only
        .address_space:  global
        .offset:         56
        .size:           8
        .value_kind:     global_buffer
      - .offset:         64
        .size:           4
        .value_kind:     by_value
      - .actual_access:  read_only
        .address_space:  global
        .offset:         72
        .size:           8
        .value_kind:     global_buffer
      - .actual_access:  read_only
        .address_space:  global
        .offset:         80
        .size:           8
        .value_kind:     global_buffer
      - .address_space:  global
        .offset:         88
        .size:           8
        .value_kind:     global_buffer
    .group_segment_fixed_size: 0
    .kernarg_segment_align: 8
    .kernarg_segment_size: 96
    .language:       OpenCL C
    .language_version:
      - 2
      - 0
    .max_flat_workgroup_size: 384
    .name:           fft_rtc_fwd_len240_factors_8_5_6_wgs_384_tpt_48_sp_ip_CI_sbcc
    .private_segment_fixed_size: 0
    .sgpr_count:     51
    .sgpr_spill_count: 0
    .symbol:         fft_rtc_fwd_len240_factors_8_5_6_wgs_384_tpt_48_sp_ip_CI_sbcc.kd
    .uniform_work_group_size: 1
    .uses_dynamic_stack: false
    .vgpr_count:     41
    .vgpr_spill_count: 0
    .wavefront_size: 32
    .workgroup_processor_mode: 1
amdhsa.target:   amdgcn-amd-amdhsa--gfx1201
amdhsa.version:
  - 1
  - 2
...

	.end_amdgpu_metadata
